;; amdgpu-corpus repo=ROCm/rocFFT kind=compiled arch=gfx906 opt=O3
	.text
	.amdgcn_target "amdgcn-amd-amdhsa--gfx906"
	.amdhsa_code_object_version 6
	.protected	fft_rtc_back_len630_factors_3_3_5_7_2_wgs_63_tpt_63_halfLds_half_ip_CI_sbrr_dirReg ; -- Begin function fft_rtc_back_len630_factors_3_3_5_7_2_wgs_63_tpt_63_halfLds_half_ip_CI_sbrr_dirReg
	.globl	fft_rtc_back_len630_factors_3_3_5_7_2_wgs_63_tpt_63_halfLds_half_ip_CI_sbrr_dirReg
	.p2align	8
	.type	fft_rtc_back_len630_factors_3_3_5_7_2_wgs_63_tpt_63_halfLds_half_ip_CI_sbrr_dirReg,@function
fft_rtc_back_len630_factors_3_3_5_7_2_wgs_63_tpt_63_halfLds_half_ip_CI_sbrr_dirReg: ; @fft_rtc_back_len630_factors_3_3_5_7_2_wgs_63_tpt_63_halfLds_half_ip_CI_sbrr_dirReg
; %bb.0:
	s_load_dwordx2 s[2:3], s[4:5], 0x18
	s_load_dwordx4 s[8:11], s[4:5], 0x0
	s_load_dwordx2 s[14:15], s[4:5], 0x50
	v_mul_u32_u24_e32 v1, 0x411, v0
	v_add_u32_sdwa v5, s6, v1 dst_sel:DWORD dst_unused:UNUSED_PAD src0_sel:DWORD src1_sel:WORD_1
	s_waitcnt lgkmcnt(0)
	s_load_dwordx2 s[12:13], s[2:3], 0x0
	v_cmp_lt_u64_e64 s[0:1], s[10:11], 2
	v_mov_b32_e32 v3, 0
	v_mov_b32_e32 v1, 0
	;; [unrolled: 1-line block ×3, first 2 shown]
	s_and_b64 vcc, exec, s[0:1]
	v_mov_b32_e32 v2, 0
	s_cbranch_vccnz .LBB0_8
; %bb.1:
	s_load_dwordx2 s[0:1], s[4:5], 0x10
	s_add_u32 s6, s2, 8
	s_addc_u32 s7, s3, 0
	v_mov_b32_e32 v1, 0
	v_mov_b32_e32 v2, 0
	s_waitcnt lgkmcnt(0)
	s_add_u32 s16, s0, 8
	s_addc_u32 s17, s1, 0
	s_mov_b64 s[18:19], 1
.LBB0_2:                                ; =>This Inner Loop Header: Depth=1
	s_load_dwordx2 s[20:21], s[16:17], 0x0
                                        ; implicit-def: $vgpr7_vgpr8
	s_waitcnt lgkmcnt(0)
	v_or_b32_e32 v4, s21, v6
	v_cmp_ne_u64_e32 vcc, 0, v[3:4]
	s_and_saveexec_b64 s[0:1], vcc
	s_xor_b64 s[22:23], exec, s[0:1]
	s_cbranch_execz .LBB0_4
; %bb.3:                                ;   in Loop: Header=BB0_2 Depth=1
	v_cvt_f32_u32_e32 v4, s20
	v_cvt_f32_u32_e32 v7, s21
	s_sub_u32 s0, 0, s20
	s_subb_u32 s1, 0, s21
	v_mac_f32_e32 v4, 0x4f800000, v7
	v_rcp_f32_e32 v4, v4
	v_mul_f32_e32 v4, 0x5f7ffffc, v4
	v_mul_f32_e32 v7, 0x2f800000, v4
	v_trunc_f32_e32 v7, v7
	v_mac_f32_e32 v4, 0xcf800000, v7
	v_cvt_u32_f32_e32 v7, v7
	v_cvt_u32_f32_e32 v4, v4
	v_mul_lo_u32 v8, s0, v7
	v_mul_hi_u32 v9, s0, v4
	v_mul_lo_u32 v11, s1, v4
	v_mul_lo_u32 v10, s0, v4
	v_add_u32_e32 v8, v9, v8
	v_add_u32_e32 v8, v8, v11
	v_mul_hi_u32 v9, v4, v10
	v_mul_lo_u32 v11, v4, v8
	v_mul_hi_u32 v13, v4, v8
	v_mul_hi_u32 v12, v7, v10
	v_mul_lo_u32 v10, v7, v10
	v_mul_hi_u32 v14, v7, v8
	v_add_co_u32_e32 v9, vcc, v9, v11
	v_addc_co_u32_e32 v11, vcc, 0, v13, vcc
	v_mul_lo_u32 v8, v7, v8
	v_add_co_u32_e32 v9, vcc, v9, v10
	v_addc_co_u32_e32 v9, vcc, v11, v12, vcc
	v_addc_co_u32_e32 v10, vcc, 0, v14, vcc
	v_add_co_u32_e32 v8, vcc, v9, v8
	v_addc_co_u32_e32 v9, vcc, 0, v10, vcc
	v_add_co_u32_e32 v4, vcc, v4, v8
	v_addc_co_u32_e32 v7, vcc, v7, v9, vcc
	v_mul_lo_u32 v8, s0, v7
	v_mul_hi_u32 v9, s0, v4
	v_mul_lo_u32 v10, s1, v4
	v_mul_lo_u32 v11, s0, v4
	v_add_u32_e32 v8, v9, v8
	v_add_u32_e32 v8, v8, v10
	v_mul_lo_u32 v12, v4, v8
	v_mul_hi_u32 v13, v4, v11
	v_mul_hi_u32 v14, v4, v8
	;; [unrolled: 1-line block ×3, first 2 shown]
	v_mul_lo_u32 v11, v7, v11
	v_mul_hi_u32 v9, v7, v8
	v_add_co_u32_e32 v12, vcc, v13, v12
	v_addc_co_u32_e32 v13, vcc, 0, v14, vcc
	v_mul_lo_u32 v8, v7, v8
	v_add_co_u32_e32 v11, vcc, v12, v11
	v_addc_co_u32_e32 v10, vcc, v13, v10, vcc
	v_addc_co_u32_e32 v9, vcc, 0, v9, vcc
	v_add_co_u32_e32 v8, vcc, v10, v8
	v_addc_co_u32_e32 v9, vcc, 0, v9, vcc
	v_add_co_u32_e32 v4, vcc, v4, v8
	v_addc_co_u32_e32 v9, vcc, v7, v9, vcc
	v_mad_u64_u32 v[7:8], s[0:1], v5, v9, 0
	v_mul_hi_u32 v10, v5, v4
	v_add_co_u32_e32 v11, vcc, v10, v7
	v_addc_co_u32_e32 v12, vcc, 0, v8, vcc
	v_mad_u64_u32 v[7:8], s[0:1], v6, v4, 0
	v_mad_u64_u32 v[9:10], s[0:1], v6, v9, 0
	v_add_co_u32_e32 v4, vcc, v11, v7
	v_addc_co_u32_e32 v4, vcc, v12, v8, vcc
	v_addc_co_u32_e32 v7, vcc, 0, v10, vcc
	v_add_co_u32_e32 v4, vcc, v4, v9
	v_addc_co_u32_e32 v9, vcc, 0, v7, vcc
	v_mul_lo_u32 v10, s21, v4
	v_mul_lo_u32 v11, s20, v9
	v_mad_u64_u32 v[7:8], s[0:1], s20, v4, 0
	v_add3_u32 v8, v8, v11, v10
	v_sub_u32_e32 v10, v6, v8
	v_mov_b32_e32 v11, s21
	v_sub_co_u32_e32 v7, vcc, v5, v7
	v_subb_co_u32_e64 v10, s[0:1], v10, v11, vcc
	v_subrev_co_u32_e64 v11, s[0:1], s20, v7
	v_subbrev_co_u32_e64 v10, s[0:1], 0, v10, s[0:1]
	v_cmp_le_u32_e64 s[0:1], s21, v10
	v_cndmask_b32_e64 v12, 0, -1, s[0:1]
	v_cmp_le_u32_e64 s[0:1], s20, v11
	v_cndmask_b32_e64 v11, 0, -1, s[0:1]
	v_cmp_eq_u32_e64 s[0:1], s21, v10
	v_cndmask_b32_e64 v10, v12, v11, s[0:1]
	v_add_co_u32_e64 v11, s[0:1], 2, v4
	v_addc_co_u32_e64 v12, s[0:1], 0, v9, s[0:1]
	v_add_co_u32_e64 v13, s[0:1], 1, v4
	v_addc_co_u32_e64 v14, s[0:1], 0, v9, s[0:1]
	v_subb_co_u32_e32 v8, vcc, v6, v8, vcc
	v_cmp_ne_u32_e64 s[0:1], 0, v10
	v_cmp_le_u32_e32 vcc, s21, v8
	v_cndmask_b32_e64 v10, v14, v12, s[0:1]
	v_cndmask_b32_e64 v12, 0, -1, vcc
	v_cmp_le_u32_e32 vcc, s20, v7
	v_cndmask_b32_e64 v7, 0, -1, vcc
	v_cmp_eq_u32_e32 vcc, s21, v8
	v_cndmask_b32_e32 v7, v12, v7, vcc
	v_cmp_ne_u32_e32 vcc, 0, v7
	v_cndmask_b32_e64 v7, v13, v11, s[0:1]
	v_cndmask_b32_e32 v8, v9, v10, vcc
	v_cndmask_b32_e32 v7, v4, v7, vcc
.LBB0_4:                                ;   in Loop: Header=BB0_2 Depth=1
	s_andn2_saveexec_b64 s[0:1], s[22:23]
	s_cbranch_execz .LBB0_6
; %bb.5:                                ;   in Loop: Header=BB0_2 Depth=1
	v_cvt_f32_u32_e32 v4, s20
	s_sub_i32 s22, 0, s20
	v_rcp_iflag_f32_e32 v4, v4
	v_mul_f32_e32 v4, 0x4f7ffffe, v4
	v_cvt_u32_f32_e32 v4, v4
	v_mul_lo_u32 v7, s22, v4
	v_mul_hi_u32 v7, v4, v7
	v_add_u32_e32 v4, v4, v7
	v_mul_hi_u32 v4, v5, v4
	v_mul_lo_u32 v7, v4, s20
	v_add_u32_e32 v8, 1, v4
	v_sub_u32_e32 v7, v5, v7
	v_subrev_u32_e32 v9, s20, v7
	v_cmp_le_u32_e32 vcc, s20, v7
	v_cndmask_b32_e32 v7, v7, v9, vcc
	v_cndmask_b32_e32 v4, v4, v8, vcc
	v_add_u32_e32 v8, 1, v4
	v_cmp_le_u32_e32 vcc, s20, v7
	v_cndmask_b32_e32 v7, v4, v8, vcc
	v_mov_b32_e32 v8, v3
.LBB0_6:                                ;   in Loop: Header=BB0_2 Depth=1
	s_or_b64 exec, exec, s[0:1]
	v_mul_lo_u32 v4, v8, s20
	v_mul_lo_u32 v11, v7, s21
	v_mad_u64_u32 v[9:10], s[0:1], v7, s20, 0
	s_load_dwordx2 s[0:1], s[6:7], 0x0
	s_add_u32 s18, s18, 1
	v_add3_u32 v4, v10, v11, v4
	v_sub_co_u32_e32 v5, vcc, v5, v9
	v_subb_co_u32_e32 v4, vcc, v6, v4, vcc
	s_waitcnt lgkmcnt(0)
	v_mul_lo_u32 v4, s0, v4
	v_mul_lo_u32 v6, s1, v5
	v_mad_u64_u32 v[1:2], s[0:1], s0, v5, v[1:2]
	s_addc_u32 s19, s19, 0
	s_add_u32 s6, s6, 8
	v_add3_u32 v2, v6, v2, v4
	v_mov_b32_e32 v4, s10
	v_mov_b32_e32 v5, s11
	s_addc_u32 s7, s7, 0
	v_cmp_ge_u64_e32 vcc, s[18:19], v[4:5]
	s_add_u32 s16, s16, 8
	s_addc_u32 s17, s17, 0
	s_cbranch_vccnz .LBB0_9
; %bb.7:                                ;   in Loop: Header=BB0_2 Depth=1
	v_mov_b32_e32 v5, v7
	v_mov_b32_e32 v6, v8
	s_branch .LBB0_2
.LBB0_8:
	v_mov_b32_e32 v8, v6
	v_mov_b32_e32 v7, v5
.LBB0_9:
	s_lshl_b64 s[0:1], s[10:11], 3
	s_add_u32 s0, s2, s0
	s_addc_u32 s1, s3, s1
	s_load_dwordx2 s[2:3], s[0:1], 0x0
	s_load_dwordx2 s[6:7], s[4:5], 0x20
                                        ; implicit-def: $vgpr6
	s_waitcnt lgkmcnt(0)
	v_mad_u64_u32 v[1:2], s[0:1], s2, v7, v[1:2]
	s_mov_b32 s0, 0x4104105
	v_mul_lo_u32 v3, s2, v8
	v_mul_lo_u32 v4, s3, v7
	v_mul_hi_u32 v5, v0, s0
	v_cmp_gt_u64_e32 vcc, s[6:7], v[7:8]
	v_cmp_le_u64_e64 s[0:1], s[6:7], v[7:8]
	v_add3_u32 v2, v4, v2, v3
	v_mul_u32_u24_e32 v3, 63, v5
	v_sub_u32_e32 v0, v0, v3
	v_add_u32_e32 v8, 63, v0
                                        ; implicit-def: $vgpr4
	s_and_saveexec_b64 s[2:3], s[0:1]
	s_xor_b64 s[0:1], exec, s[2:3]
; %bb.10:
	v_add_u32_e32 v6, 63, v0
	v_add_u32_e32 v4, 0x7e, v0
; %bb.11:
	s_or_saveexec_b64 s[2:3], s[0:1]
	v_lshlrev_b64 v[2:3], 2, v[1:2]
                                        ; implicit-def: $vgpr25
                                        ; implicit-def: $vgpr7
                                        ; implicit-def: $vgpr27
                                        ; implicit-def: $vgpr1
                                        ; implicit-def: $vgpr30
                                        ; implicit-def: $vgpr11
                                        ; implicit-def: $vgpr26
                                        ; implicit-def: $vgpr10
                                        ; implicit-def: $vgpr28
                                        ; implicit-def: $vgpr5
                                        ; implicit-def: $vgpr32
                                        ; implicit-def: $vgpr12
                                        ; implicit-def: $vgpr29
                                        ; implicit-def: $vgpr14
                                        ; implicit-def: $vgpr33
                                        ; implicit-def: $vgpr9
                                        ; implicit-def: $vgpr35
                                        ; implicit-def: $vgpr13
                                        ; implicit-def: $vgpr20
                                        ; implicit-def: $vgpr18
                                        ; implicit-def: $vgpr24
                                        ; implicit-def: $vgpr16
                                        ; implicit-def: $vgpr23
                                        ; implicit-def: $vgpr15
	s_xor_b64 exec, exec, s[2:3]
	s_cbranch_execz .LBB0_15
; %bb.12:
	v_mad_u64_u32 v[4:5], s[0:1], s12, v0, 0
	v_add_u32_e32 v11, 0xd2, v0
	v_mad_u64_u32 v[9:10], s[0:1], s12, v11, 0
	v_mov_b32_e32 v1, v5
	v_mad_u64_u32 v[5:6], s[0:1], s13, v0, v[1:2]
	v_mov_b32_e32 v7, s15
	v_add_co_u32_e64 v6, s[0:1], s14, v2
	v_mov_b32_e32 v1, v10
	v_addc_co_u32_e64 v17, s[0:1], v7, v3, s[0:1]
	v_mad_u64_u32 v[10:11], s[0:1], s13, v11, v[1:2]
	v_add_u32_e32 v7, 0x1a4, v0
	v_mad_u64_u32 v[11:12], s[0:1], s12, v7, 0
	v_lshlrev_b64 v[4:5], 2, v[4:5]
	v_add_co_u32_e64 v15, s[0:1], v6, v4
	v_addc_co_u32_e64 v16, s[0:1], v17, v5, s[0:1]
	v_mov_b32_e32 v1, v12
	v_mad_u64_u32 v[13:14], s[0:1], s12, v8, 0
	v_lshlrev_b64 v[4:5], 2, v[9:10]
	v_mad_u64_u32 v[9:10], s[0:1], s13, v7, v[1:2]
	v_add_co_u32_e64 v18, s[0:1], v6, v4
	v_mov_b32_e32 v1, v14
	v_addc_co_u32_e64 v19, s[0:1], v17, v5, s[0:1]
	v_mov_b32_e32 v12, v9
	v_mad_u64_u32 v[9:10], s[0:1], s13, v8, v[1:2]
	v_add_u32_e32 v7, 0x111, v0
	v_lshlrev_b64 v[4:5], 2, v[11:12]
	v_mad_u64_u32 v[10:11], s[0:1], s12, v7, 0
	v_add_co_u32_e64 v20, s[0:1], v6, v4
	v_mov_b32_e32 v1, v11
	v_addc_co_u32_e64 v21, s[0:1], v17, v5, s[0:1]
	v_mov_b32_e32 v14, v9
	v_mad_u64_u32 v[11:12], s[0:1], s13, v7, v[1:2]
	v_add_u32_e32 v7, 0x1e3, v0
	v_lshlrev_b64 v[4:5], 2, v[13:14]
	v_mad_u64_u32 v[12:13], s[0:1], s12, v7, 0
	v_add_co_u32_e64 v22, s[0:1], v6, v4
	v_add_u32_e32 v4, 0x7e, v0
	v_addc_co_u32_e64 v23, s[0:1], v17, v5, s[0:1]
	v_mov_b32_e32 v1, v13
	v_mad_u64_u32 v[24:25], s[0:1], s12, v4, 0
	v_mad_u64_u32 v[13:14], s[0:1], s13, v7, v[1:2]
	v_lshlrev_b64 v[9:10], 2, v[10:11]
	v_mov_b32_e32 v1, v25
	v_add_co_u32_e64 v26, s[0:1], v6, v9
	v_addc_co_u32_e64 v27, s[0:1], v17, v10, s[0:1]
	v_lshlrev_b64 v[9:10], 2, v[12:13]
	v_mad_u64_u32 v[11:12], s[0:1], s13, v4, v[1:2]
	v_add_u32_e32 v5, 0x150, v0
	v_mad_u64_u32 v[12:13], s[0:1], s12, v5, 0
	v_add_co_u32_e64 v28, s[0:1], v6, v9
	v_mov_b32_e32 v25, v11
	v_addc_co_u32_e64 v29, s[0:1], v17, v10, s[0:1]
	v_lshlrev_b64 v[9:10], 2, v[24:25]
	v_mov_b32_e32 v1, v13
	v_mad_u64_u32 v[13:14], s[0:1], s13, v5, v[1:2]
	v_add_co_u32_e64 v24, s[0:1], v6, v9
	v_add_u32_e32 v5, 0x222, v0
	v_addc_co_u32_e64 v25, s[0:1], v17, v10, s[0:1]
	v_mad_u64_u32 v[30:31], s[0:1], s12, v5, 0
	v_lshlrev_b64 v[9:10], 2, v[12:13]
	v_add_co_u32_e64 v32, s[0:1], v6, v9
	v_mov_b32_e32 v1, v31
	v_addc_co_u32_e64 v33, s[0:1], v17, v10, s[0:1]
	v_mad_u64_u32 v[13:14], s[0:1], s13, v5, v[1:2]
	global_load_dword v7, v[15:16], off
	global_load_dword v1, v[18:19], off
	;; [unrolled: 1-line block ×8, first 2 shown]
                                        ; implicit-def: $vgpr23
                                        ; implicit-def: $vgpr24
                                        ; implicit-def: $vgpr18
                                        ; implicit-def: $vgpr20
	v_mov_b32_e32 v31, v13
	v_lshlrev_b64 v[15:16], 2, v[30:31]
	v_add_co_u32_e64 v15, s[0:1], v6, v15
	v_addc_co_u32_e64 v16, s[0:1], v17, v16, s[0:1]
	global_load_dword v13, v[15:16], off
	v_cmp_gt_u32_e64 s[0:1], 21, v0
                                        ; implicit-def: $vgpr15
                                        ; implicit-def: $vgpr16
	s_and_saveexec_b64 s[4:5], s[0:1]
	s_cbranch_execz .LBB0_14
; %bb.13:
	v_add_u32_e32 v20, 0xbd, v0
	v_mad_u64_u32 v[15:16], s[0:1], s12, v20, 0
	v_add_u32_e32 v22, 0x18f, v0
	v_mad_u64_u32 v[18:19], s[0:1], s12, v22, 0
	v_mad_u64_u32 v[20:21], s[0:1], s13, v20, v[16:17]
	v_add_u32_e32 v24, 0x261, v0
	v_mov_b32_e32 v16, v20
	v_mad_u64_u32 v[19:20], s[0:1], s13, v22, v[19:20]
	v_mad_u64_u32 v[20:21], s[0:1], s12, v24, 0
	v_lshlrev_b64 v[15:16], 2, v[15:16]
	v_add_co_u32_e64 v22, s[0:1], v6, v15
	v_addc_co_u32_e64 v23, s[0:1], v17, v16, s[0:1]
	v_lshlrev_b64 v[15:16], 2, v[18:19]
	v_mov_b32_e32 v18, v21
	v_mad_u64_u32 v[18:19], s[0:1], s13, v24, v[18:19]
	v_add_co_u32_e64 v24, s[0:1], v6, v15
	v_mov_b32_e32 v21, v18
	v_addc_co_u32_e64 v25, s[0:1], v17, v16, s[0:1]
	v_lshlrev_b64 v[15:16], 2, v[20:21]
	v_add_co_u32_e64 v19, s[0:1], v6, v15
	v_addc_co_u32_e64 v20, s[0:1], v17, v16, s[0:1]
	global_load_dword v18, v[22:23], off
	global_load_dword v15, v[24:25], off
	global_load_dword v16, v[19:20], off
	s_waitcnt vmcnt(2)
	v_lshrrev_b32_e32 v20, 16, v18
	s_waitcnt vmcnt(1)
	v_lshrrev_b32_e32 v23, 16, v15
	;; [unrolled: 2-line block ×3, first 2 shown]
.LBB0_14:
	s_or_b64 exec, exec, s[4:5]
	s_waitcnt vmcnt(8)
	v_lshrrev_b32_e32 v25, 16, v7
	s_waitcnt vmcnt(7)
	v_lshrrev_b32_e32 v27, 16, v1
	;; [unrolled: 2-line block ×9, first 2 shown]
	v_mov_b32_e32 v6, v8
.LBB0_15:
	s_or_b64 exec, exec, s[2:3]
	v_add_f16_e32 v17, v1, v11
	v_fma_f16 v17, v17, -0.5, v7
	v_sub_f16_e32 v19, v27, v30
	s_mov_b32 s0, 0xbaee
	s_movk_i32 s1, 0x3aee
	v_add_f16_e32 v7, v7, v1
	v_fma_f16 v31, v19, s0, v17
	v_fma_f16 v17, v19, s1, v17
	v_add_f16_e32 v19, v5, v12
	v_add_f16_e32 v7, v7, v11
	v_mad_u32_u24 v42, v0, 6, 0
	v_fma_f16 v19, v19, -0.5, v10
	v_sub_f16_e32 v21, v28, v32
	ds_write_b16 v42, v7
	ds_write_b16 v42, v31 offset:2
	ds_write_b16 v42, v17 offset:4
	v_add_f16_e32 v7, v10, v5
	v_fma_f16 v34, v21, s0, v19
	v_fma_f16 v19, v21, s1, v19
	v_add_f16_e32 v21, v9, v13
	v_add_f16_e32 v7, v7, v12
	v_mad_i32_i24 v40, v6, 6, 0
	v_fma_f16 v21, v21, -0.5, v14
	v_sub_f16_e32 v22, v33, v35
	ds_write_b16 v40, v7
	ds_write_b16 v40, v34 offset:2
	ds_write_b16 v40, v19 offset:4
	v_add_f16_e32 v7, v14, v9
	v_fma_f16 v36, v22, s0, v21
	v_fma_f16 v37, v22, s1, v21
	v_add_f16_e32 v21, v16, v15
	v_add_f16_e32 v7, v7, v13
	v_mad_i32_i24 v41, v4, 6, 0
	v_fma_f16 v22, v21, -0.5, v18
	v_sub_f16_e32 v38, v23, v24
	ds_write_b16 v41, v7
	ds_write_b16 v41, v36 offset:2
	ds_write_b16 v41, v37 offset:4
	v_add_f16_e32 v7, v18, v15
	v_fma_f16 v21, v38, s0, v22
	v_fma_f16 v22, v38, s1, v22
	v_add_f16_e32 v7, v16, v7
	v_cmp_gt_u32_e64 s[0:1], 21, v0
	s_and_saveexec_b64 s[2:3], s[0:1]
	s_cbranch_execz .LBB0_17
; %bb.16:
	ds_write_b16 v42, v7 offset:1134
	ds_write_b16 v42, v21 offset:1136
	;; [unrolled: 1-line block ×3, first 2 shown]
.LBB0_17:
	s_or_b64 exec, exec, s[2:3]
	v_lshlrev_b32_e32 v10, 2, v0
	v_lshlrev_b32_e32 v14, 2, v6
	;; [unrolled: 1-line block ×3, first 2 shown]
	v_sub_u32_e32 v10, v42, v10
	v_sub_u32_e32 v19, v40, v14
	;; [unrolled: 1-line block ×3, first 2 shown]
	s_waitcnt lgkmcnt(0)
	; wave barrier
	s_waitcnt lgkmcnt(0)
	ds_read_u16 v17, v10
	ds_read_u16 v38, v10 offset:420
	ds_read_u16 v37, v10 offset:546
	;; [unrolled: 1-line block ×3, first 2 shown]
	ds_read_u16 v18, v18
	ds_read_u16 v19, v19
	ds_read_u16 v31, v10 offset:1092
	ds_read_u16 v39, v10 offset:840
	ds_read_u16 v36, v10 offset:672
	s_and_saveexec_b64 s[2:3], s[0:1]
	s_cbranch_execz .LBB0_19
; %bb.18:
	ds_read_u16 v7, v10 offset:378
	ds_read_u16 v21, v10 offset:798
	;; [unrolled: 1-line block ×3, first 2 shown]
.LBB0_19:
	s_or_b64 exec, exec, s[2:3]
	v_sub_u32_e32 v44, 0, v14
	v_add_f16_e32 v14, v25, v27
	v_add_f16_e32 v45, v14, v30
	;; [unrolled: 1-line block ×3, first 2 shown]
	v_fma_f16 v14, v14, -0.5, v25
	v_sub_f16_e32 v1, v1, v11
	s_movk_i32 s2, 0x3aee
	s_mov_b32 s3, 0xbaee
	v_fma_f16 v11, v1, s2, v14
	v_fma_f16 v25, v1, s3, v14
	v_add_f16_e32 v1, v26, v28
	v_add_f16_e32 v27, v1, v32
	v_add_f16_e32 v1, v28, v32
	v_fma_f16 v1, v1, -0.5, v26
	v_sub_f16_e32 v5, v5, v12
	v_fma_f16 v12, v5, s2, v1
	v_fma_f16 v26, v5, s3, v1
	v_add_f16_e32 v1, v29, v33
	v_add_f16_e32 v28, v1, v35
	v_add_f16_e32 v1, v33, v35
	v_fma_f16 v1, v1, -0.5, v29
	v_sub_f16_e32 v5, v9, v13
	;; [unrolled: 7-line block ×3, first 2 shown]
	v_sub_u32_e32 v43, 0, v43
	v_fma_f16 v5, v15, s2, v1
	v_fma_f16 v1, v15, s3, v1
	s_waitcnt lgkmcnt(0)
	; wave barrier
	s_waitcnt lgkmcnt(0)
	ds_write_b16 v42, v45
	ds_write_b16 v42, v11 offset:2
	ds_write_b16 v42, v25 offset:4
	ds_write_b16 v40, v27
	ds_write_b16 v40, v12 offset:2
	ds_write_b16 v40, v26 offset:4
	;; [unrolled: 3-line block ×3, first 2 shown]
	s_and_saveexec_b64 s[2:3], s[0:1]
	s_cbranch_execz .LBB0_21
; %bb.20:
	ds_write_b16 v42, v14 offset:1134
	ds_write_b16 v42, v5 offset:1136
	;; [unrolled: 1-line block ×3, first 2 shown]
.LBB0_21:
	s_or_b64 exec, exec, s[2:3]
	v_add_u32_e32 v12, v41, v43
	s_waitcnt lgkmcnt(0)
	; wave barrier
	s_waitcnt lgkmcnt(0)
	v_add_u32_e32 v11, v40, v44
	ds_read_u16 v15, v10
	ds_read_u16 v24, v10 offset:420
	ds_read_u16 v28, v10 offset:546
	;; [unrolled: 1-line block ×3, first 2 shown]
	ds_read_u16 v13, v12
	ds_read_u16 v16, v11
	ds_read_u16 v40, v10 offset:1092
	ds_read_u16 v29, v10 offset:840
	ds_read_u16 v32, v10 offset:672
	s_and_saveexec_b64 s[2:3], s[0:1]
	s_cbranch_execz .LBB0_23
; %bb.22:
	ds_read_u16 v14, v10 offset:378
	ds_read_u16 v5, v10 offset:798
	;; [unrolled: 1-line block ×3, first 2 shown]
.LBB0_23:
	s_or_b64 exec, exec, s[2:3]
	s_movk_i32 s2, 0xab
	v_mul_lo_u16_sdwa v9, v0, s2 dst_sel:DWORD dst_unused:UNUSED_PAD src0_sel:BYTE_0 src1_sel:DWORD
	v_mul_lo_u16_sdwa v20, v6, s2 dst_sel:DWORD dst_unused:UNUSED_PAD src0_sel:BYTE_0 src1_sel:DWORD
	v_lshrrev_b16_e32 v49, 9, v9
	v_lshrrev_b16_e32 v51, 9, v20
	v_mul_lo_u16_e32 v9, 3, v49
	v_mul_lo_u16_e32 v20, 3, v51
	v_sub_u16_e32 v50, v0, v9
	v_mov_b32_e32 v23, 3
	v_sub_u16_e32 v52, v6, v20
	v_lshlrev_b32_sdwa v9, v23, v50 dst_sel:DWORD dst_unused:UNUSED_PAD src0_sel:DWORD src1_sel:BYTE_0
	v_lshlrev_b32_sdwa v20, v23, v52 dst_sel:DWORD dst_unused:UNUSED_PAD src0_sel:DWORD src1_sel:BYTE_0
	global_load_dwordx2 v[41:42], v9, s[8:9]
	global_load_dwordx2 v[43:44], v20, s[8:9]
	v_mul_lo_u16_sdwa v20, v4, s2 dst_sel:DWORD dst_unused:UNUSED_PAD src0_sel:BYTE_0 src1_sel:DWORD
	v_lshrrev_b16_e32 v53, 9, v20
	v_mul_lo_u16_e32 v20, 3, v53
	v_sub_u16_e32 v54, v4, v20
	v_add_u32_e32 v9, 0xbd, v0
	v_lshlrev_b32_sdwa v20, v23, v54 dst_sel:DWORD dst_unused:UNUSED_PAD src0_sel:DWORD src1_sel:BYTE_0
	global_load_dwordx2 v[45:46], v20, s[8:9]
	v_mul_lo_u16_sdwa v20, v9, s2 dst_sel:DWORD dst_unused:UNUSED_PAD src0_sel:BYTE_0 src1_sel:DWORD
	v_lshrrev_b16_e32 v55, 9, v20
	v_mul_lo_u16_e32 v20, 3, v55
	v_sub_u16_e32 v20, v9, v20
	v_lshlrev_b32_sdwa v23, v23, v20 dst_sel:DWORD dst_unused:UNUSED_PAD src0_sel:DWORD src1_sel:BYTE_0
	global_load_dwordx2 v[47:48], v23, s[8:9]
	s_mov_b32 s4, 0xbaee
	s_movk_i32 s5, 0x3aee
	s_waitcnt lgkmcnt(0)
	; wave barrier
	s_waitcnt vmcnt(3) lgkmcnt(0)
	v_mul_f16_sdwa v25, v38, v41 dst_sel:DWORD dst_unused:UNUSED_PAD src0_sel:DWORD src1_sel:WORD_1
	v_mul_f16_sdwa v23, v24, v41 dst_sel:DWORD dst_unused:UNUSED_PAD src0_sel:DWORD src1_sel:WORD_1
	v_fma_f16 v25, v24, v41, -v25
	v_mul_f16_sdwa v24, v29, v42 dst_sel:DWORD dst_unused:UNUSED_PAD src0_sel:DWORD src1_sel:WORD_1
	v_fma_f16 v26, v39, v42, v24
	v_mul_f16_sdwa v24, v39, v42 dst_sel:DWORD dst_unused:UNUSED_PAD src0_sel:DWORD src1_sel:WORD_1
	v_fma_f16 v30, v29, v42, -v24
	s_waitcnt vmcnt(2)
	v_mul_f16_sdwa v24, v28, v43 dst_sel:DWORD dst_unused:UNUSED_PAD src0_sel:DWORD src1_sel:WORD_1
	v_mul_f16_sdwa v29, v37, v43 dst_sel:DWORD dst_unused:UNUSED_PAD src0_sel:DWORD src1_sel:WORD_1
	;; [unrolled: 1-line block ×3, first 2 shown]
	v_fma_f16 v24, v37, v43, v24
	v_mul_f16_sdwa v35, v34, v44 dst_sel:DWORD dst_unused:UNUSED_PAD src0_sel:DWORD src1_sel:WORD_1
	s_waitcnt vmcnt(1)
	v_mul_f16_sdwa v37, v32, v45 dst_sel:DWORD dst_unused:UNUSED_PAD src0_sel:DWORD src1_sel:WORD_1
	v_fma_f16 v23, v38, v41, v23
	v_fma_f16 v28, v28, v43, -v29
	v_fma_f16 v29, v34, v44, v33
	v_mul_f16_sdwa v33, v36, v45 dst_sel:DWORD dst_unused:UNUSED_PAD src0_sel:DWORD src1_sel:WORD_1
	v_fma_f16 v35, v27, v44, -v35
	v_mul_f16_sdwa v34, v40, v46 dst_sel:DWORD dst_unused:UNUSED_PAD src0_sel:DWORD src1_sel:WORD_1
	s_waitcnt vmcnt(0)
	v_mul_f16_sdwa v39, v5, v47 dst_sel:DWORD dst_unused:UNUSED_PAD src0_sel:DWORD src1_sel:WORD_1
	v_fma_f16 v27, v36, v45, v37
	v_mul_f16_sdwa v37, v21, v47 dst_sel:DWORD dst_unused:UNUSED_PAD src0_sel:DWORD src1_sel:WORD_1
	v_mul_f16_sdwa v41, v1, v48 dst_sel:DWORD dst_unused:UNUSED_PAD src0_sel:DWORD src1_sel:WORD_1
	;; [unrolled: 1-line block ×3, first 2 shown]
	v_fma_f16 v32, v32, v45, -v33
	v_fma_f16 v33, v31, v46, v34
	v_mul_f16_sdwa v42, v22, v48 dst_sel:DWORD dst_unused:UNUSED_PAD src0_sel:DWORD src1_sel:WORD_1
	v_fma_f16 v31, v21, v47, v39
	v_fma_f16 v21, v5, v47, -v37
	v_fma_f16 v34, v22, v48, v41
	v_add_f16_e32 v37, v24, v29
	v_fma_f16 v36, v40, v46, -v38
	v_fma_f16 v22, v1, v48, -v42
	v_add_f16_e32 v1, v23, v26
	v_sub_f16_e32 v38, v28, v35
	v_add_f16_e32 v41, v31, v34
	v_fma_f16 v37, v37, -0.5, v19
	v_sub_f16_e32 v5, v25, v30
	v_add_f16_e32 v39, v27, v33
	v_sub_f16_e32 v42, v21, v22
	v_fma_f16 v1, v1, -0.5, v17
	v_fma_f16 v41, v41, -0.5, v7
	v_fma_f16 v45, v38, s4, v37
	v_fma_f16 v46, v38, s5, v37
	v_mov_b32_e32 v37, 1
	v_add_f16_e32 v17, v17, v23
	v_sub_f16_e32 v40, v32, v36
	v_fma_f16 v39, v39, -0.5, v18
	v_fma_f16 v43, v5, s4, v1
	v_fma_f16 v44, v5, s5, v1
	;; [unrolled: 1-line block ×4, first 2 shown]
	v_lshlrev_b32_sdwa v38, v37, v50 dst_sel:DWORD dst_unused:UNUSED_PAD src0_sel:DWORD src1_sel:BYTE_0
	v_add_f16_e32 v42, v17, v26
	v_mul_u32_u24_e32 v17, 18, v49
	v_fma_f16 v47, v40, s4, v39
	v_fma_f16 v39, v40, s5, v39
	v_lshlrev_b32_sdwa v40, v37, v52 dst_sel:DWORD dst_unused:UNUSED_PAD src0_sel:DWORD src1_sel:BYTE_0
	v_add_f16_e32 v19, v19, v24
	v_add3_u32 v17, 0, v17, v38
	v_mul_u32_u24_e32 v38, 18, v51
	v_add_f16_e32 v19, v19, v29
	v_add3_u32 v38, 0, v38, v40
	v_lshlrev_b32_sdwa v41, v37, v54 dst_sel:DWORD dst_unused:UNUSED_PAD src0_sel:DWORD src1_sel:BYTE_0
	v_add_f16_e32 v18, v18, v27
	ds_write_b16 v17, v42
	ds_write_b16 v17, v43 offset:6
	ds_write_b16 v17, v44 offset:12
	ds_write_b16 v38, v19
	ds_write_b16 v38, v45 offset:6
	ds_write_b16 v38, v46 offset:12
	v_mul_u32_u24_e32 v19, 18, v53
	v_add_f16_e32 v18, v18, v33
	v_add3_u32 v40, 0, v19, v41
	ds_write_b16 v40, v18
	ds_write_b16 v40, v47 offset:6
	ds_write_b16 v40, v39 offset:12
	v_mul_u32_u24_e32 v39, 18, v55
	s_and_saveexec_b64 s[2:3], s[0:1]
	s_cbranch_execz .LBB0_25
; %bb.24:
	v_add_f16_e32 v7, v7, v31
	v_lshlrev_b32_sdwa v18, v37, v20 dst_sel:DWORD dst_unused:UNUSED_PAD src0_sel:DWORD src1_sel:BYTE_0
	v_add_f16_e32 v7, v7, v34
	v_add3_u32 v18, 0, v39, v18
	ds_write_b16 v18, v7
	ds_write_b16 v18, v5 offset:6
	ds_write_b16 v18, v1 offset:12
.LBB0_25:
	s_or_b64 exec, exec, s[2:3]
	v_add_f16_e32 v7, v15, v25
	v_add_f16_e32 v37, v7, v30
	v_add_f16_e32 v7, v25, v30
	v_fma_f16 v7, v7, -0.5, v15
	v_sub_f16_e32 v15, v23, v26
	v_fma_f16 v30, v15, s5, v7
	v_fma_f16 v41, v15, s4, v7
	v_add_f16_e32 v7, v16, v28
	v_add_f16_e32 v42, v7, v35
	v_add_f16_e32 v7, v28, v35
	v_fma_f16 v7, v7, -0.5, v16
	v_sub_f16_e32 v15, v24, v29
	v_fma_f16 v35, v15, s5, v7
	v_fma_f16 v43, v15, s4, v7
	;; [unrolled: 7-line block ×3, first 2 shown]
	v_add_f16_e32 v7, v21, v22
	v_fma_f16 v7, v7, -0.5, v14
	v_sub_f16_e32 v13, v31, v34
	v_fma_f16 v15, v13, s5, v7
	v_fma_f16 v7, v13, s4, v7
	s_waitcnt lgkmcnt(0)
	; wave barrier
	s_waitcnt lgkmcnt(0)
	v_lshl_add_u32 v13, v0, 1, 0
	ds_read_u16 v24, v12
	ds_read_u16 v16, v11
	;; [unrolled: 1-line block ×3, first 2 shown]
	ds_read_u16 v23, v10 offset:378
	ds_read_u16 v27, v13 offset:504
	;; [unrolled: 1-line block ×7, first 2 shown]
	s_waitcnt lgkmcnt(0)
	; wave barrier
	s_waitcnt lgkmcnt(0)
	ds_write_b16 v17, v37
	ds_write_b16 v17, v30 offset:6
	ds_write_b16 v17, v41 offset:12
	ds_write_b16 v38, v42
	ds_write_b16 v38, v35 offset:6
	ds_write_b16 v38, v43 offset:12
	;; [unrolled: 3-line block ×3, first 2 shown]
	s_and_saveexec_b64 s[2:3], s[0:1]
	s_cbranch_execz .LBB0_27
; %bb.26:
	v_mov_b32_e32 v17, 1
	v_add_f16_e32 v14, v14, v21
	v_lshlrev_b32_sdwa v17, v17, v20 dst_sel:DWORD dst_unused:UNUSED_PAD src0_sel:DWORD src1_sel:BYTE_0
	v_add_f16_e32 v14, v14, v22
	v_add3_u32 v17, 0, v39, v17
	ds_write_b16 v17, v14
	ds_write_b16 v17, v15 offset:6
	ds_write_b16 v17, v7 offset:12
.LBB0_27:
	s_or_b64 exec, exec, s[2:3]
	v_mov_b32_e32 v14, 57
	v_mul_lo_u16_sdwa v17, v0, v14 dst_sel:DWORD dst_unused:UNUSED_PAD src0_sel:BYTE_0 src1_sel:DWORD
	v_lshrrev_b16_e32 v20, 9, v17
	v_mul_lo_u16_sdwa v14, v6, v14 dst_sel:DWORD dst_unused:UNUSED_PAD src0_sel:BYTE_0 src1_sel:DWORD
	v_mul_lo_u16_e32 v17, 9, v20
	v_lshrrev_b16_e32 v49, 9, v14
	v_sub_u16_e32 v34, v0, v17
	v_mov_b32_e32 v17, 4
	v_mul_lo_u16_e32 v14, 9, v49
	v_lshlrev_b32_sdwa v21, v17, v34 dst_sel:DWORD dst_unused:UNUSED_PAD src0_sel:DWORD src1_sel:BYTE_0
	v_sub_u16_e32 v50, v6, v14
	s_waitcnt lgkmcnt(0)
	; wave barrier
	s_waitcnt lgkmcnt(0)
	global_load_dwordx4 v[30:33], v21, s[8:9] offset:24
	v_lshlrev_b32_sdwa v14, v17, v50 dst_sel:DWORD dst_unused:UNUSED_PAD src0_sel:DWORD src1_sel:BYTE_0
	global_load_dwordx4 v[45:48], v14, s[8:9] offset:24
	ds_read_u16 v21, v12
	ds_read_u16 v14, v11
	;; [unrolled: 1-line block ×3, first 2 shown]
	ds_read_u16 v22, v10 offset:378
	ds_read_u16 v35, v13 offset:504
	;; [unrolled: 1-line block ×7, first 2 shown]
	s_mov_b32 s5, 0xbb9c
	s_mov_b32 s4, 0xb8b4
	s_movk_i32 s7, 0x3b9c
	s_movk_i32 s6, 0x34f2
	;; [unrolled: 1-line block ×3, first 2 shown]
	v_mul_u32_u24_e32 v20, 0x5a, v20
	s_waitcnt lgkmcnt(0)
	; wave barrier
	s_waitcnt lgkmcnt(0)
	v_cmp_gt_u32_e64 s[0:1], 27, v0
	s_waitcnt vmcnt(1)
	v_mul_f16_sdwa v36, v21, v30 dst_sel:DWORD dst_unused:UNUSED_PAD src0_sel:DWORD src1_sel:WORD_1
	v_mul_f16_sdwa v38, v24, v30 dst_sel:DWORD dst_unused:UNUSED_PAD src0_sel:DWORD src1_sel:WORD_1
	;; [unrolled: 1-line block ×7, first 2 shown]
	s_waitcnt vmcnt(0)
	v_mul_f16_sdwa v63, v51, v48 dst_sel:DWORD dst_unused:UNUSED_PAD src0_sel:DWORD src1_sel:WORD_1
	v_fma_f16 v41, v24, v30, v36
	v_fma_f16 v36, v21, v30, -v38
	v_fma_f16 v42, v27, v31, v40
	v_fma_f16 v38, v35, v31, -v43
	v_fma_f16 v43, v29, v32, v44
	v_mul_f16_sdwa v54, v29, v32 dst_sel:DWORD dst_unused:UNUSED_PAD src0_sel:DWORD src1_sel:WORD_1
	v_mul_f16_sdwa v57, v22, v45 dst_sel:DWORD dst_unused:UNUSED_PAD src0_sel:DWORD src1_sel:WORD_1
	;; [unrolled: 1-line block ×5, first 2 shown]
	v_fma_f16 v44, v28, v33, v55
	v_fma_f16 v40, v37, v33, -v56
	v_fma_f16 v37, v19, v48, v63
	v_add_f16_e32 v19, v18, v41
	v_add_f16_e32 v21, v42, v43
	v_mul_f16_sdwa v60, v26, v46 dst_sel:DWORD dst_unused:UNUSED_PAD src0_sel:DWORD src1_sel:WORD_1
	v_fma_f16 v39, v39, v32, -v54
	v_fma_f16 v29, v23, v45, v57
	v_fma_f16 v22, v22, v45, -v58
	v_fma_f16 v33, v26, v46, v59
	v_sub_f16_e32 v26, v36, v40
	v_sub_f16_e32 v28, v41, v42
	;; [unrolled: 1-line block ×3, first 2 shown]
	v_add_f16_e32 v31, v41, v44
	v_sub_f16_e32 v32, v42, v41
	v_sub_f16_e32 v45, v43, v44
	v_add_f16_e32 v19, v19, v42
	v_fma_f16 v21, v21, -0.5, v18
	v_mul_f16_sdwa v61, v52, v47 dst_sel:DWORD dst_unused:UNUSED_PAD src0_sel:DWORD src1_sel:WORD_1
	v_fma_f16 v23, v53, v46, -v60
	v_sub_f16_e32 v27, v38, v39
	v_add_f16_e32 v46, v16, v29
	v_add_f16_e32 v28, v28, v30
	v_fma_f16 v18, v31, -0.5, v18
	v_add_f16_e32 v30, v32, v45
	v_add_f16_e32 v19, v19, v43
	v_fma_f16 v32, v26, s5, v21
	v_fma_f16 v35, v25, v47, v61
	v_add_f16_e32 v31, v46, v33
	v_fma_f16 v21, v26, s7, v21
	v_fma_f16 v45, v27, s7, v18
	;; [unrolled: 1-line block ×3, first 2 shown]
	v_add_f16_e32 v46, v19, v44
	v_fma_f16 v19, v27, s4, v32
	v_fma_f16 v21, v27, s10, v21
	;; [unrolled: 1-line block ×5, first 2 shown]
	v_add_f16_e32 v19, v31, v35
	v_mul_f16_sdwa v62, v25, v47 dst_sel:DWORD dst_unused:UNUSED_PAD src0_sel:DWORD src1_sel:WORD_1
	v_fma_f16 v25, v51, v48, -v64
	v_fma_f16 v27, v30, s6, v27
	v_fma_f16 v18, v30, s6, v18
	v_add_f16_e32 v30, v19, v37
	v_add_f16_e32 v19, v33, v35
	v_fma_f16 v24, v52, v47, -v62
	v_fma_f16 v19, v19, -0.5, v16
	v_sub_f16_e32 v31, v22, v25
	v_fma_f16 v28, v28, s6, v21
	v_fma_f16 v21, v31, s5, v19
	v_sub_f16_e32 v32, v23, v24
	v_sub_f16_e32 v45, v29, v33
	;; [unrolled: 1-line block ×3, first 2 shown]
	v_fma_f16 v19, v31, s7, v19
	v_fma_f16 v21, v32, s4, v21
	v_add_f16_e32 v45, v45, v47
	v_fma_f16 v19, v32, s10, v19
	v_fma_f16 v47, v45, s6, v21
	;; [unrolled: 1-line block ×3, first 2 shown]
	v_add_f16_e32 v19, v29, v37
	v_fma_f16 v19, v19, -0.5, v16
	v_fma_f16 v16, v32, s7, v19
	v_fma_f16 v19, v32, s5, v19
	;; [unrolled: 1-line block ×3, first 2 shown]
	v_sub_f16_e32 v45, v33, v29
	v_sub_f16_e32 v48, v35, v37
	v_fma_f16 v19, v31, s10, v19
	v_mov_b32_e32 v31, 1
	v_add_f16_e32 v45, v45, v48
	v_lshlrev_b32_sdwa v32, v31, v34 dst_sel:DWORD dst_unused:UNUSED_PAD src0_sel:DWORD src1_sel:BYTE_0
	v_fma_f16 v16, v45, s6, v16
	v_fma_f16 v19, v45, s6, v19
	v_add3_u32 v45, 0, v20, v32
	ds_write_b16 v45, v46
	ds_write_b16 v45, v26 offset:18
	ds_write_b16 v45, v27 offset:36
	;; [unrolled: 1-line block ×4, first 2 shown]
	v_mul_u32_u24_e32 v18, 0x5a, v49
	v_lshlrev_b32_sdwa v20, v31, v50 dst_sel:DWORD dst_unused:UNUSED_PAD src0_sel:DWORD src1_sel:BYTE_0
	v_add3_u32 v46, 0, v18, v20
	ds_write_b16 v46, v30
	ds_write_b16 v46, v47 offset:18
	ds_write_b16 v46, v16 offset:36
	;; [unrolled: 1-line block ×4, first 2 shown]
	s_waitcnt lgkmcnt(0)
	; wave barrier
	s_waitcnt lgkmcnt(0)
	ds_read_u16 v31, v10
	ds_read_u16 v27, v10 offset:180
	ds_read_u16 v26, v10 offset:360
	;; [unrolled: 1-line block ×6, first 2 shown]
                                        ; implicit-def: $vgpr34
                                        ; implicit-def: $vgpr32
	s_and_saveexec_b64 s[2:3], s[0:1]
	s_cbranch_execz .LBB0_29
; %bb.28:
	ds_read_u16 v19, v10 offset:306
	ds_read_u16 v21, v10 offset:486
	ds_read_u16 v5, v10 offset:666
	ds_read_u16 v1, v10 offset:846
	ds_read_u16 v32, v10 offset:1026
	ds_read_u16 v16, v11
	ds_read_u16 v34, v10 offset:1206
.LBB0_29:
	s_or_b64 exec, exec, s[2:3]
	v_add_f16_e32 v48, v38, v39
	v_fma_f16 v48, v48, -0.5, v17
	v_sub_f16_e32 v41, v41, v44
	v_fma_f16 v44, v41, s7, v48
	v_sub_f16_e32 v42, v42, v43
	v_add_f16_e32 v47, v17, v36
	v_fma_f16 v43, v42, s10, v44
	v_sub_f16_e32 v44, v36, v38
	v_sub_f16_e32 v49, v40, v39
	v_fma_f16 v48, v41, s5, v48
	v_add_f16_e32 v47, v47, v38
	v_add_f16_e32 v44, v44, v49
	v_fma_f16 v48, v42, s4, v48
	v_add_f16_e32 v47, v47, v39
	v_fma_f16 v43, v44, s6, v43
	v_fma_f16 v44, v44, s6, v48
	v_add_f16_e32 v48, v36, v40
	v_sub_f16_e32 v36, v38, v36
	v_sub_f16_e32 v38, v39, v40
	v_add_f16_e32 v39, v23, v24
	v_fma_f16 v39, v39, -0.5, v14
	v_sub_f16_e32 v29, v29, v37
	v_fma_f16 v37, v29, s7, v39
	v_sub_f16_e32 v35, v33, v35
	v_add_f16_e32 v47, v47, v40
	v_fma_f16 v33, v35, s10, v37
	v_sub_f16_e32 v37, v22, v23
	v_sub_f16_e32 v40, v25, v24
	v_fma_f16 v17, v48, -0.5, v17
	v_add_f16_e32 v37, v37, v40
	v_fma_f16 v48, v42, s5, v17
	v_fma_f16 v17, v42, s7, v17
	;; [unrolled: 1-line block ×5, first 2 shown]
	v_add_f16_e32 v36, v36, v38
	v_fma_f16 v17, v41, s4, v17
	v_fma_f16 v33, v35, s4, v33
	;; [unrolled: 1-line block ×4, first 2 shown]
	v_add_f16_e32 v36, v14, v22
	v_fma_f16 v33, v37, s6, v33
	v_add_f16_e32 v37, v22, v25
	v_add_f16_e32 v36, v36, v23
	v_fma_f16 v37, v37, -0.5, v14
	v_sub_f16_e32 v22, v23, v22
	v_sub_f16_e32 v23, v24, v25
	v_add_f16_e32 v36, v36, v24
	v_fma_f16 v14, v35, s5, v37
	v_add_f16_e32 v22, v22, v23
	v_fma_f16 v23, v35, s7, v37
	;; [unrolled: 2-line block ×3, first 2 shown]
	v_fma_f16 v23, v29, s4, v23
	v_fma_f16 v14, v22, s6, v14
	;; [unrolled: 1-line block ×3, first 2 shown]
	s_waitcnt lgkmcnt(0)
	; wave barrier
	s_waitcnt lgkmcnt(0)
	ds_write_b16 v45, v47
	ds_write_b16 v45, v43 offset:18
	ds_write_b16 v45, v38 offset:36
	;; [unrolled: 1-line block ×4, first 2 shown]
	ds_write_b16 v46, v36
	ds_write_b16 v46, v40 offset:18
	ds_write_b16 v46, v14 offset:36
	;; [unrolled: 1-line block ×4, first 2 shown]
	s_waitcnt lgkmcnt(0)
	; wave barrier
	s_waitcnt lgkmcnt(0)
	ds_read_u16 v17, v10
	ds_read_u16 v24, v10 offset:180
	ds_read_u16 v37, v10 offset:360
	ds_read_u16 v29, v10 offset:540
	ds_read_u16 v35, v10 offset:720
	ds_read_u16 v36, v10 offset:900
	ds_read_u16 v38, v10 offset:1080
                                        ; implicit-def: $vgpr39
                                        ; implicit-def: $vgpr40
	s_and_saveexec_b64 s[2:3], s[0:1]
	s_cbranch_execz .LBB0_31
; %bb.30:
	ds_read_u16 v22, v10 offset:306
	ds_read_u16 v33, v10 offset:486
	;; [unrolled: 1-line block ×5, first 2 shown]
	ds_read_u16 v14, v11
	ds_read_u16 v39, v10 offset:1206
.LBB0_31:
	s_or_b64 exec, exec, s[2:3]
	v_subrev_u32_e32 v23, 45, v0
	v_cmp_gt_u32_e64 s[2:3], 45, v0
	v_cndmask_b32_e64 v47, v23, v0, s[2:3]
	v_mul_i32_i24_e32 v41, 6, v47
	v_mov_b32_e32 v42, 0
	v_lshlrev_b64 v[41:42], 2, v[41:42]
	v_mov_b32_e32 v23, s9
	v_add_co_u32_e64 v45, s[2:3], s8, v41
	v_addc_co_u32_e64 v46, s[2:3], v23, v42, s[2:3]
	global_load_dwordx4 v[41:44], v[45:46], off offset:168
	s_movk_i32 s2, 0x6d
	s_movk_i32 s4, 0x2b26
	s_mov_b32 s5, 0xbb00
	s_mov_b32 s6, 0xbcab
	s_movk_i32 s7, 0x39e0
	s_mov_b32 s10, 0xb9e0
	s_mov_b32 s11, 0xb574
	s_movk_i32 s17, 0x3574
	s_mov_b32 s16, 0xb70e
	s_waitcnt vmcnt(0)
	v_mul_f16_sdwa v25, v27, v41 dst_sel:DWORD dst_unused:UNUSED_PAD src0_sel:DWORD src1_sel:WORD_1
	s_waitcnt lgkmcnt(5)
	v_mul_f16_sdwa v23, v24, v41 dst_sel:DWORD dst_unused:UNUSED_PAD src0_sel:DWORD src1_sel:WORD_1
	v_fma_f16 v25, v24, v41, -v25
	s_waitcnt lgkmcnt(4)
	v_mul_f16_sdwa v24, v37, v42 dst_sel:DWORD dst_unused:UNUSED_PAD src0_sel:DWORD src1_sel:WORD_1
	v_fma_f16 v24, v26, v42, v24
	v_mul_f16_sdwa v26, v26, v42 dst_sel:DWORD dst_unused:UNUSED_PAD src0_sel:DWORD src1_sel:WORD_1
	v_fma_f16 v23, v27, v41, v23
	v_fma_f16 v27, v37, v42, -v26
	global_load_dwordx2 v[41:42], v[45:46], off offset:184
	s_waitcnt lgkmcnt(3)
	v_mul_f16_sdwa v26, v29, v43 dst_sel:DWORD dst_unused:UNUSED_PAD src0_sel:DWORD src1_sel:WORD_1
	v_fma_f16 v26, v28, v43, v26
	v_mul_f16_sdwa v28, v28, v43 dst_sel:DWORD dst_unused:UNUSED_PAD src0_sel:DWORD src1_sel:WORD_1
	v_fma_f16 v28, v29, v43, -v28
	s_waitcnt lgkmcnt(2)
	v_mul_f16_sdwa v29, v35, v44 dst_sel:DWORD dst_unused:UNUSED_PAD src0_sel:DWORD src1_sel:WORD_1
	v_fma_f16 v29, v30, v44, v29
	v_mul_f16_sdwa v30, v30, v44 dst_sel:DWORD dst_unused:UNUSED_PAD src0_sel:DWORD src1_sel:WORD_1
	v_fma_f16 v30, v35, v44, -v30
	s_waitcnt vmcnt(0) lgkmcnt(1)
	v_mul_f16_sdwa v35, v36, v41 dst_sel:DWORD dst_unused:UNUSED_PAD src0_sel:DWORD src1_sel:WORD_1
	v_fma_f16 v35, v20, v41, v35
	v_mul_f16_sdwa v20, v20, v41 dst_sel:DWORD dst_unused:UNUSED_PAD src0_sel:DWORD src1_sel:WORD_1
	v_fma_f16 v36, v36, v41, -v20
	s_waitcnt lgkmcnt(0)
	v_mul_f16_sdwa v20, v38, v42 dst_sel:DWORD dst_unused:UNUSED_PAD src0_sel:DWORD src1_sel:WORD_1
	v_fma_f16 v37, v18, v42, v20
	v_mul_f16_sdwa v18, v18, v42 dst_sel:DWORD dst_unused:UNUSED_PAD src0_sel:DWORD src1_sel:WORD_1
	v_fma_f16 v38, v38, v42, -v18
	v_mul_lo_u16_sdwa v18, v6, s2 dst_sel:DWORD dst_unused:UNUSED_PAD src0_sel:BYTE_0 src1_sel:DWORD
	v_sub_u16_sdwa v20, v6, v18 dst_sel:DWORD dst_unused:UNUSED_PAD src0_sel:DWORD src1_sel:BYTE_1
	v_lshrrev_b16_e32 v20, 1, v20
	v_and_b32_e32 v20, 0x7f, v20
	v_add_u16_sdwa v18, v20, v18 dst_sel:DWORD dst_unused:UNUSED_PAD src0_sel:DWORD src1_sel:BYTE_1
	v_lshrrev_b16_e32 v18, 5, v18
	v_mul_lo_u16_e32 v18, 45, v18
	v_sub_u16_e32 v18, v6, v18
	v_and_b32_e32 v45, 0xff, v18
	v_mul_u32_u24_e32 v18, 6, v45
	v_lshlrev_b32_e32 v46, 2, v18
	global_load_dwordx4 v[41:44], v46, s[8:9] offset:168
	v_cmp_lt_u32_e64 s[2:3], 44, v0
	s_waitcnt vmcnt(0)
	v_mul_f16_sdwa v18, v22, v41 dst_sel:DWORD dst_unused:UNUSED_PAD src0_sel:DWORD src1_sel:WORD_1
	v_fma_f16 v18, v19, v41, v18
	v_mul_f16_sdwa v19, v19, v41 dst_sel:DWORD dst_unused:UNUSED_PAD src0_sel:DWORD src1_sel:WORD_1
	v_fma_f16 v20, v22, v41, -v19
	v_mul_f16_sdwa v19, v33, v42 dst_sel:DWORD dst_unused:UNUSED_PAD src0_sel:DWORD src1_sel:WORD_1
	v_fma_f16 v19, v21, v42, v19
	v_mul_f16_sdwa v21, v21, v42 dst_sel:DWORD dst_unused:UNUSED_PAD src0_sel:DWORD src1_sel:WORD_1
	v_fma_f16 v22, v33, v42, -v21
	global_load_dwordx2 v[41:42], v46, s[8:9] offset:184
	v_mul_f16_sdwa v21, v15, v43 dst_sel:DWORD dst_unused:UNUSED_PAD src0_sel:DWORD src1_sel:WORD_1
	v_fma_f16 v21, v5, v43, v21
	v_mul_f16_sdwa v5, v5, v43 dst_sel:DWORD dst_unused:UNUSED_PAD src0_sel:DWORD src1_sel:WORD_1
	v_fma_f16 v5, v15, v43, -v5
	v_mul_f16_sdwa v15, v7, v44 dst_sel:DWORD dst_unused:UNUSED_PAD src0_sel:DWORD src1_sel:WORD_1
	v_fma_f16 v15, v1, v44, v15
	v_mul_f16_sdwa v1, v1, v44 dst_sel:DWORD dst_unused:UNUSED_PAD src0_sel:DWORD src1_sel:WORD_1
	v_fma_f16 v1, v7, v44, -v1
	v_add_f16_e32 v43, v26, v29
	v_sub_f16_e32 v44, v30, v28
	s_waitcnt lgkmcnt(0)
	; wave barrier
	s_waitcnt vmcnt(0)
	v_mul_f16_sdwa v7, v40, v41 dst_sel:DWORD dst_unused:UNUSED_PAD src0_sel:DWORD src1_sel:WORD_1
	v_mul_f16_sdwa v33, v39, v42 dst_sel:DWORD dst_unused:UNUSED_PAD src0_sel:DWORD src1_sel:WORD_1
	v_fma_f16 v7, v32, v41, v7
	v_mul_f16_sdwa v32, v32, v41 dst_sel:DWORD dst_unused:UNUSED_PAD src0_sel:DWORD src1_sel:WORD_1
	v_fma_f16 v33, v34, v42, v33
	v_mul_f16_sdwa v34, v34, v42 dst_sel:DWORD dst_unused:UNUSED_PAD src0_sel:DWORD src1_sel:WORD_1
	v_fma_f16 v32, v40, v41, -v32
	v_fma_f16 v34, v39, v42, -v34
	v_add_f16_e32 v39, v23, v37
	v_add_f16_e32 v41, v24, v35
	v_sub_f16_e32 v40, v25, v38
	v_sub_f16_e32 v42, v27, v36
	v_add_f16_e32 v46, v41, v39
	v_sub_f16_e32 v48, v41, v39
	v_sub_f16_e32 v39, v39, v43
	v_sub_f16_e32 v41, v43, v41
	v_add_f16_e32 v49, v44, v42
	v_sub_f16_e32 v50, v44, v42
	v_sub_f16_e32 v42, v42, v40
	v_add_f16_e32 v43, v43, v46
	v_sub_f16_e32 v44, v40, v44
	v_add_f16_e32 v40, v49, v40
	v_add_f16_e32 v31, v31, v43
	v_mul_f16_e32 v39, 0x3a52, v39
	v_mul_f16_e32 v46, 0x2b26, v41
	;; [unrolled: 1-line block ×4, first 2 shown]
	v_fma_f16 v43, v43, s6, v31
	v_fma_f16 v41, v41, s4, v39
	v_fma_f16 v46, v48, s7, -v46
	v_fma_f16 v39, v48, s10, -v39
	v_fma_f16 v48, v44, s11, v49
	v_fma_f16 v42, v42, s5, -v49
	v_fma_f16 v44, v44, s17, -v50
	v_add_f16_e32 v41, v41, v43
	v_add_f16_e32 v46, v46, v43
	;; [unrolled: 1-line block ×3, first 2 shown]
	v_fma_f16 v43, v40, s16, v48
	v_fma_f16 v42, v40, s16, v42
	;; [unrolled: 1-line block ×3, first 2 shown]
	v_add_f16_e32 v48, v40, v39
	v_sub_f16_e32 v40, v39, v40
	v_mov_b32_e32 v39, 0x276
	v_add_f16_e32 v44, v43, v41
	v_sub_f16_e32 v41, v41, v43
	v_cndmask_b32_e64 v39, 0, v39, s[2:3]
	v_lshlrev_b32_e32 v43, 1, v47
	v_add3_u32 v39, 0, v39, v43
	v_sub_f16_e32 v49, v46, v42
	v_add_f16_e32 v42, v42, v46
	ds_write_b16 v39, v31
	ds_write_b16 v39, v44 offset:90
	ds_write_b16 v39, v48 offset:180
	;; [unrolled: 1-line block ×6, first 2 shown]
	v_lshl_add_u32 v31, v45, 1, 0
	s_and_saveexec_b64 s[2:3], s[0:1]
	s_cbranch_execz .LBB0_33
; %bb.32:
	v_add_f16_e32 v40, v18, v33
	v_add_f16_e32 v43, v19, v7
	;; [unrolled: 1-line block ×4, first 2 shown]
	v_sub_f16_e32 v42, v40, v41
	v_sub_f16_e32 v44, v41, v43
	v_add_f16_e32 v41, v41, v46
	v_sub_f16_e32 v46, v20, v34
	v_sub_f16_e32 v47, v1, v5
	;; [unrolled: 1-line block ×5, first 2 shown]
	v_add_f16_e32 v47, v47, v49
	v_sub_f16_e32 v40, v43, v40
	v_sub_f16_e32 v43, v49, v46
	v_mul_f16_e32 v42, 0x3a52, v42
	v_mul_f16_e32 v45, 0x2b26, v44
	v_add_f16_e32 v16, v16, v41
	v_mul_f16_e32 v50, 0x3846, v50
	v_add_f16_e32 v47, v47, v46
	v_mul_f16_e32 v46, 0xbb00, v43
	v_fma_f16 v44, v44, s4, v42
	v_fma_f16 v41, v41, s6, v16
	;; [unrolled: 1-line block ×3, first 2 shown]
	v_fma_f16 v42, v40, s10, -v42
	v_fma_f16 v46, v48, s17, -v46
	;; [unrolled: 1-line block ×4, first 2 shown]
	v_add_f16_e32 v44, v44, v41
	v_fma_f16 v51, v47, s16, v51
	v_add_f16_e32 v42, v42, v41
	v_fma_f16 v46, v47, s16, v46
	v_fma_f16 v43, v47, s16, v43
	v_add_f16_e32 v40, v40, v41
	v_sub_f16_e32 v52, v44, v51
	v_sub_f16_e32 v48, v42, v46
	v_add_f16_e32 v41, v43, v40
	v_sub_f16_e32 v40, v40, v43
	v_add_f16_e32 v42, v46, v42
	v_add_f16_e32 v43, v51, v44
	ds_write_b16 v31, v16 offset:630
	ds_write_b16 v31, v43 offset:720
	;; [unrolled: 1-line block ×7, first 2 shown]
.LBB0_33:
	s_or_b64 exec, exec, s[2:3]
	v_add_f16_e32 v16, v25, v38
	v_add_f16_e32 v25, v27, v36
	v_sub_f16_e32 v23, v23, v37
	v_sub_f16_e32 v24, v24, v35
	v_add_f16_e32 v27, v28, v30
	v_sub_f16_e32 v26, v29, v26
	v_add_f16_e32 v28, v25, v16
	v_sub_f16_e32 v29, v25, v16
	v_sub_f16_e32 v16, v16, v27
	;; [unrolled: 1-line block ×3, first 2 shown]
	v_add_f16_e32 v30, v26, v24
	v_sub_f16_e32 v35, v26, v24
	v_sub_f16_e32 v24, v24, v23
	v_add_f16_e32 v27, v27, v28
	v_sub_f16_e32 v26, v23, v26
	v_add_f16_e32 v23, v30, v23
	v_add_f16_e32 v36, v17, v27
	v_mul_f16_e32 v16, 0x3a52, v16
	v_mul_f16_e32 v17, 0x2b26, v25
	;; [unrolled: 1-line block ×4, first 2 shown]
	v_fma_f16 v27, v27, s6, v36
	v_fma_f16 v25, v25, s4, v16
	v_fma_f16 v17, v29, s7, -v17
	v_fma_f16 v16, v29, s10, -v16
	v_fma_f16 v29, v26, s11, v28
	v_fma_f16 v24, v24, s5, -v28
	v_fma_f16 v26, v26, s17, -v30
	v_add_f16_e32 v25, v25, v27
	v_add_f16_e32 v17, v17, v27
	;; [unrolled: 1-line block ×3, first 2 shown]
	v_fma_f16 v27, v23, s16, v29
	v_fma_f16 v24, v23, s16, v24
	;; [unrolled: 1-line block ×3, first 2 shown]
	v_sub_f16_e32 v35, v25, v27
	v_sub_f16_e32 v37, v16, v23
	v_add_f16_e32 v38, v24, v17
	v_sub_f16_e32 v40, v17, v24
	v_add_f16_e32 v41, v23, v16
	v_add_f16_e32 v42, v27, v25
	s_waitcnt lgkmcnt(0)
	; wave barrier
	s_waitcnt lgkmcnt(0)
	ds_read_u16 v16, v11
	ds_read_u16 v23, v12
	ds_read_u16 v17, v10
	ds_read_u16 v25, v10 offset:630
	ds_read_u16 v26, v10 offset:756
	;; [unrolled: 1-line block ×7, first 2 shown]
	s_waitcnt lgkmcnt(0)
	; wave barrier
	s_waitcnt lgkmcnt(0)
	ds_write_b16 v39, v36
	ds_write_b16 v39, v35 offset:90
	ds_write_b16 v39, v37 offset:180
	;; [unrolled: 1-line block ×6, first 2 shown]
	s_and_saveexec_b64 s[2:3], s[0:1]
	s_cbranch_execz .LBB0_35
; %bb.34:
	v_add_f16_e32 v20, v20, v34
	v_add_f16_e32 v22, v22, v32
	v_sub_f16_e32 v7, v19, v7
	v_add_f16_e32 v1, v5, v1
	v_sub_f16_e32 v5, v15, v21
	v_sub_f16_e32 v18, v18, v33
	v_add_f16_e32 v15, v22, v20
	v_sub_f16_e32 v19, v22, v20
	v_sub_f16_e32 v20, v20, v1
	;; [unrolled: 1-line block ×3, first 2 shown]
	v_add_f16_e32 v22, v5, v7
	v_sub_f16_e32 v32, v5, v7
	v_sub_f16_e32 v5, v18, v5
	;; [unrolled: 1-line block ×3, first 2 shown]
	v_add_f16_e32 v1, v1, v15
	v_add_f16_e32 v15, v22, v18
	v_mul_f16_e32 v18, 0x3a52, v20
	s_movk_i32 s0, 0x2b26
	v_mul_f16_e32 v20, 0x2b26, v21
	v_fma_f16 v21, v21, s0, v18
	s_movk_i32 s0, 0x39e0
	v_fma_f16 v20, v19, s0, -v20
	s_mov_b32 s0, 0xb9e0
	v_mul_f16_e32 v22, 0x3846, v32
	v_fma_f16 v18, v19, s0, -v18
	s_mov_b32 s0, 0xb574
	v_add_f16_e32 v14, v14, v1
	s_mov_b32 s1, 0xbb00
	v_mul_f16_e32 v32, 0xbb00, v7
	s_mov_b32 s4, 0xbcab
	v_fma_f16 v19, v5, s0, v22
	s_movk_i32 s0, 0x3574
	v_fma_f16 v1, v1, s4, v14
	v_fma_f16 v7, v7, s1, -v22
	v_fma_f16 v5, v5, s0, -v32
	s_mov_b32 s0, 0xb70e
	v_add_f16_e32 v21, v21, v1
	v_add_f16_e32 v20, v20, v1
	;; [unrolled: 1-line block ×3, first 2 shown]
	v_fma_f16 v18, v15, s0, v19
	v_fma_f16 v7, v15, s0, v7
	;; [unrolled: 1-line block ×3, first 2 shown]
	v_sub_f16_e32 v15, v21, v18
	v_sub_f16_e32 v19, v1, v5
	v_add_f16_e32 v22, v7, v20
	v_sub_f16_e32 v7, v20, v7
	v_add_f16_e32 v1, v5, v1
	v_add_f16_e32 v5, v18, v21
	ds_write_b16 v31, v14 offset:630
	ds_write_b16 v31, v15 offset:720
	;; [unrolled: 1-line block ×7, first 2 shown]
.LBB0_35:
	s_or_b64 exec, exec, s[2:3]
	s_waitcnt lgkmcnt(0)
	; wave barrier
	s_waitcnt lgkmcnt(0)
	s_and_saveexec_b64 s[0:1], vcc
	s_cbranch_execz .LBB0_37
; %bb.36:
	v_mov_b32_e32 v1, 0
	v_lshlrev_b64 v[14:15], 2, v[0:1]
	v_mov_b32_e32 v5, v1
	v_mov_b32_e32 v18, s9
	v_add_co_u32_e32 v14, vcc, s8, v14
	v_lshlrev_b64 v[4:5], 2, v[4:5]
	v_addc_co_u32_e32 v15, vcc, v18, v15, vcc
	v_mov_b32_e32 v7, v1
	v_add_co_u32_e32 v4, vcc, s8, v4
	v_lshlrev_b64 v[6:7], 2, v[6:7]
	global_load_dword v19, v[14:15], off offset:2256
	v_addc_co_u32_e32 v5, vcc, v18, v5, vcc
	v_add_co_u32_e32 v6, vcc, s8, v6
	v_addc_co_u32_e32 v7, vcc, v18, v7, vcc
	global_load_dword v18, v[4:5], off offset:1248
	global_load_dword v20, v[6:7], off offset:1248
	;; [unrolled: 1-line block ×4, first 2 shown]
	v_mad_u64_u32 v[4:5], s[0:1], s12, v0, 0
	ds_read_u16 v7, v13 offset:504
	ds_read_u16 v13, v13 offset:378
	ds_read_u16 v12, v12
	ds_read_u16 v11, v11
	ds_read_u16 v14, v10 offset:1134
	ds_read_u16 v15, v10 offset:1008
	;; [unrolled: 1-line block ×5, first 2 shown]
	ds_read_u16 v10, v10
	v_mov_b32_e32 v1, v5
	v_mov_b32_e32 v34, s15
	v_mad_u64_u32 v[5:6], s[0:1], s13, v0, v[1:2]
	v_add_co_u32_e32 v35, vcc, s14, v2
	v_addc_co_u32_e32 v34, vcc, v34, v3, vcc
	s_movk_i32 s2, 0x13b
	s_waitcnt vmcnt(4)
	v_lshrrev_b32_e32 v1, 16, v19
	v_mul_f16_e32 v2, v30, v19
	s_waitcnt lgkmcnt(5)
	v_fma_f16 v2, v14, v1, v2
	v_mul_f16_e32 v1, v30, v1
	s_waitcnt vmcnt(3)
	v_lshrrev_b32_e32 v30, 16, v18
	v_mul_f16_e32 v36, v28, v18
	s_waitcnt vmcnt(1)
	v_lshrrev_b32_e32 v3, 16, v21
	v_mul_f16_e32 v6, v29, v21
	v_lshrrev_b32_e32 v37, 16, v20
	s_waitcnt vmcnt(0)
	v_lshrrev_b32_e32 v39, 16, v22
	v_sub_f16_e32 v41, v27, v2
	v_fma_f16 v1, v14, v19, -v1
	s_waitcnt lgkmcnt(4)
	v_fma_f16 v2, v15, v3, v6
	v_mul_f16_e32 v3, v29, v3
	v_mul_f16_e32 v14, v28, v30
	;; [unrolled: 1-line block ×4, first 2 shown]
	s_waitcnt lgkmcnt(3)
	v_fma_f16 v6, v31, v30, v36
	v_mul_f16_e32 v26, v26, v37
	v_mul_f16_e32 v25, v25, v39
	v_sub_f16_e32 v29, v7, v1
	v_sub_f16_e32 v30, v24, v2
	v_fma_f16 v1, v15, v21, -v3
	v_fma_f16 v2, v31, v18, -v14
	v_sub_f16_e32 v15, v23, v6
	s_waitcnt lgkmcnt(2)
	v_fma_f16 v3, v32, v20, -v26
	s_waitcnt lgkmcnt(1)
	v_fma_f16 v6, v33, v22, -v25
	v_sub_f16_e32 v20, v13, v1
	v_sub_f16_e32 v22, v12, v2
	v_lshlrev_b64 v[1:2], 2, v[4:5]
	v_add_u32_e32 v5, 0x13b, v0
	v_fma_f16 v19, v32, v37, v38
	v_fma_f16 v28, v33, v39, v40
	v_fma_f16 v21, v23, 2.0, -v15
	v_sub_f16_e32 v23, v11, v3
	v_mad_u64_u32 v[3:4], s[0:1], s12, v5, 0
	v_sub_f16_e32 v14, v16, v19
	v_sub_f16_e32 v18, v17, v28
	v_fma_f16 v19, v24, 2.0, -v30
	s_waitcnt lgkmcnt(0)
	v_sub_f16_e32 v24, v10, v6
	v_fma_f16 v17, v17, 2.0, -v18
	v_fma_f16 v6, v10, 2.0, -v24
	v_add_co_u32_e32 v1, vcc, v35, v1
	v_addc_co_u32_e32 v2, vcc, v34, v2, vcc
	v_pack_b32_f16 v6, v17, v6
	global_store_dword v[1:2], v6, off
	v_mov_b32_e32 v1, v4
	v_mad_u64_u32 v[1:2], s[0:1], s13, v5, v[1:2]
	v_mad_u64_u32 v[5:6], s[0:1], s12, v8, 0
	v_mov_b32_e32 v4, v1
	v_lshlrev_b64 v[1:2], 2, v[3:4]
	v_mov_b32_e32 v3, v6
	v_mad_u64_u32 v[3:4], s[0:1], s13, v8, v[3:4]
	v_add_co_u32_e32 v1, vcc, v35, v1
	v_addc_co_u32_e32 v2, vcc, v34, v2, vcc
	v_pack_b32_f16 v4, v18, v24
	v_mov_b32_e32 v6, v3
	global_store_dword v[1:2], v4, off
	v_lshlrev_b64 v[1:2], 2, v[5:6]
	v_add_u32_e32 v5, 0x17a, v0
	v_mad_u64_u32 v[3:4], s[0:1], s12, v5, 0
	v_add_u32_e32 v10, 0x7e, v0
	v_fma_f16 v16, v16, 2.0, -v14
	v_mad_u64_u32 v[4:5], s[0:1], s13, v5, v[4:5]
	v_mad_u64_u32 v[5:6], s[0:1], s12, v10, 0
	v_fma_f16 v11, v11, 2.0, -v23
	v_add_co_u32_e32 v1, vcc, v35, v1
	v_addc_co_u32_e32 v2, vcc, v34, v2, vcc
	v_pack_b32_f16 v8, v16, v11
	global_store_dword v[1:2], v8, off
	v_lshlrev_b64 v[1:2], 2, v[3:4]
	v_mov_b32_e32 v3, v6
	v_mad_u64_u32 v[3:4], s[0:1], s13, v10, v[3:4]
	v_add_co_u32_e32 v1, vcc, v35, v1
	v_addc_co_u32_e32 v2, vcc, v34, v2, vcc
	v_pack_b32_f16 v4, v14, v23
	v_mov_b32_e32 v6, v3
	global_store_dword v[1:2], v4, off
	v_lshlrev_b64 v[1:2], 2, v[5:6]
	v_add_u32_e32 v5, 0x1b9, v0
	v_mad_u64_u32 v[3:4], s[0:1], s12, v5, 0
	v_fma_f16 v12, v12, 2.0, -v22
	v_add_co_u32_e32 v1, vcc, v35, v1
	v_mad_u64_u32 v[4:5], s[0:1], s13, v5, v[4:5]
	v_mad_u64_u32 v[5:6], s[0:1], s12, v9, 0
	v_addc_co_u32_e32 v2, vcc, v34, v2, vcc
	v_pack_b32_f16 v8, v21, v12
	global_store_dword v[1:2], v8, off
	v_lshlrev_b64 v[1:2], 2, v[3:4]
	v_mov_b32_e32 v3, v6
	v_mad_u64_u32 v[3:4], s[0:1], s13, v9, v[3:4]
	v_add_co_u32_e32 v1, vcc, v35, v1
	v_addc_co_u32_e32 v2, vcc, v34, v2, vcc
	v_pack_b32_f16 v4, v15, v22
	v_mov_b32_e32 v6, v3
	global_store_dword v[1:2], v4, off
	v_lshlrev_b64 v[1:2], 2, v[5:6]
	v_add_u32_e32 v5, 0x1f8, v0
	v_mad_u64_u32 v[3:4], s[0:1], s12, v5, 0
	v_fma_f16 v13, v13, 2.0, -v20
	v_add_co_u32_e32 v1, vcc, v35, v1
	v_mad_u64_u32 v[4:5], s[0:1], s13, v5, v[4:5]
	v_add_u32_e32 v5, 0xfc, v0
	s_mov_b32 s0, 0xa01a01a1
	v_mul_hi_u32 v8, v5, s0
	v_addc_co_u32_e32 v2, vcc, v34, v2, vcc
	v_pack_b32_f16 v6, v19, v13
	global_store_dword v[1:2], v6, off
	v_sub_u32_e32 v2, v5, v8
	v_lshrrev_b32_e32 v2, 1, v2
	v_add_u32_e32 v2, v2, v8
	v_lshrrev_b32_e32 v2, 8, v2
	v_mad_u32_u24 v5, v2, s2, v5
	v_lshlrev_b64 v[0:1], 2, v[3:4]
	v_mad_u64_u32 v[2:3], s[0:1], s12, v5, 0
	v_add_u32_e32 v8, 0x13b, v5
	v_add_co_u32_e32 v0, vcc, v35, v0
	v_mad_u64_u32 v[3:4], s[0:1], s13, v5, v[3:4]
	v_mad_u64_u32 v[4:5], s[0:1], s12, v8, 0
	v_addc_co_u32_e32 v1, vcc, v34, v1, vcc
	v_pack_b32_f16 v6, v30, v20
	global_store_dword v[0:1], v6, off
	v_lshlrev_b64 v[0:1], 2, v[2:3]
	v_mov_b32_e32 v2, v5
	v_mad_u64_u32 v[2:3], s[0:1], s13, v8, v[2:3]
	v_fma_f16 v27, v27, 2.0, -v41
	v_fma_f16 v7, v7, 2.0, -v29
	v_add_co_u32_e32 v0, vcc, v35, v0
	v_addc_co_u32_e32 v1, vcc, v34, v1, vcc
	v_pack_b32_f16 v3, v27, v7
	v_mov_b32_e32 v5, v2
	global_store_dword v[0:1], v3, off
	v_lshlrev_b64 v[0:1], 2, v[4:5]
	v_pack_b32_f16 v2, v41, v29
	v_add_co_u32_e32 v0, vcc, v35, v0
	v_addc_co_u32_e32 v1, vcc, v34, v1, vcc
	global_store_dword v[0:1], v2, off
.LBB0_37:
	s_endpgm
	.section	.rodata,"a",@progbits
	.p2align	6, 0x0
	.amdhsa_kernel fft_rtc_back_len630_factors_3_3_5_7_2_wgs_63_tpt_63_halfLds_half_ip_CI_sbrr_dirReg
		.amdhsa_group_segment_fixed_size 0
		.amdhsa_private_segment_fixed_size 0
		.amdhsa_kernarg_size 88
		.amdhsa_user_sgpr_count 6
		.amdhsa_user_sgpr_private_segment_buffer 1
		.amdhsa_user_sgpr_dispatch_ptr 0
		.amdhsa_user_sgpr_queue_ptr 0
		.amdhsa_user_sgpr_kernarg_segment_ptr 1
		.amdhsa_user_sgpr_dispatch_id 0
		.amdhsa_user_sgpr_flat_scratch_init 0
		.amdhsa_user_sgpr_private_segment_size 0
		.amdhsa_uses_dynamic_stack 0
		.amdhsa_system_sgpr_private_segment_wavefront_offset 0
		.amdhsa_system_sgpr_workgroup_id_x 1
		.amdhsa_system_sgpr_workgroup_id_y 0
		.amdhsa_system_sgpr_workgroup_id_z 0
		.amdhsa_system_sgpr_workgroup_info 0
		.amdhsa_system_vgpr_workitem_id 0
		.amdhsa_next_free_vgpr 65
		.amdhsa_next_free_sgpr 24
		.amdhsa_reserve_vcc 1
		.amdhsa_reserve_flat_scratch 0
		.amdhsa_float_round_mode_32 0
		.amdhsa_float_round_mode_16_64 0
		.amdhsa_float_denorm_mode_32 3
		.amdhsa_float_denorm_mode_16_64 3
		.amdhsa_dx10_clamp 1
		.amdhsa_ieee_mode 1
		.amdhsa_fp16_overflow 0
		.amdhsa_exception_fp_ieee_invalid_op 0
		.amdhsa_exception_fp_denorm_src 0
		.amdhsa_exception_fp_ieee_div_zero 0
		.amdhsa_exception_fp_ieee_overflow 0
		.amdhsa_exception_fp_ieee_underflow 0
		.amdhsa_exception_fp_ieee_inexact 0
		.amdhsa_exception_int_div_zero 0
	.end_amdhsa_kernel
	.text
.Lfunc_end0:
	.size	fft_rtc_back_len630_factors_3_3_5_7_2_wgs_63_tpt_63_halfLds_half_ip_CI_sbrr_dirReg, .Lfunc_end0-fft_rtc_back_len630_factors_3_3_5_7_2_wgs_63_tpt_63_halfLds_half_ip_CI_sbrr_dirReg
                                        ; -- End function
	.section	.AMDGPU.csdata,"",@progbits
; Kernel info:
; codeLenInByte = 8800
; NumSgprs: 28
; NumVgprs: 65
; ScratchSize: 0
; MemoryBound: 0
; FloatMode: 240
; IeeeMode: 1
; LDSByteSize: 0 bytes/workgroup (compile time only)
; SGPRBlocks: 3
; VGPRBlocks: 16
; NumSGPRsForWavesPerEU: 28
; NumVGPRsForWavesPerEU: 65
; Occupancy: 3
; WaveLimiterHint : 1
; COMPUTE_PGM_RSRC2:SCRATCH_EN: 0
; COMPUTE_PGM_RSRC2:USER_SGPR: 6
; COMPUTE_PGM_RSRC2:TRAP_HANDLER: 0
; COMPUTE_PGM_RSRC2:TGID_X_EN: 1
; COMPUTE_PGM_RSRC2:TGID_Y_EN: 0
; COMPUTE_PGM_RSRC2:TGID_Z_EN: 0
; COMPUTE_PGM_RSRC2:TIDIG_COMP_CNT: 0
	.type	__hip_cuid_43e2aee84d164ee2,@object ; @__hip_cuid_43e2aee84d164ee2
	.section	.bss,"aw",@nobits
	.globl	__hip_cuid_43e2aee84d164ee2
__hip_cuid_43e2aee84d164ee2:
	.byte	0                               ; 0x0
	.size	__hip_cuid_43e2aee84d164ee2, 1

	.ident	"AMD clang version 19.0.0git (https://github.com/RadeonOpenCompute/llvm-project roc-6.4.0 25133 c7fe45cf4b819c5991fe208aaa96edf142730f1d)"
	.section	".note.GNU-stack","",@progbits
	.addrsig
	.addrsig_sym __hip_cuid_43e2aee84d164ee2
	.amdgpu_metadata
---
amdhsa.kernels:
  - .args:
      - .actual_access:  read_only
        .address_space:  global
        .offset:         0
        .size:           8
        .value_kind:     global_buffer
      - .offset:         8
        .size:           8
        .value_kind:     by_value
      - .actual_access:  read_only
        .address_space:  global
        .offset:         16
        .size:           8
        .value_kind:     global_buffer
      - .actual_access:  read_only
        .address_space:  global
        .offset:         24
        .size:           8
        .value_kind:     global_buffer
      - .offset:         32
        .size:           8
        .value_kind:     by_value
      - .actual_access:  read_only
        .address_space:  global
        .offset:         40
        .size:           8
        .value_kind:     global_buffer
      - .actual_access:  read_only
        .address_space:  global
        .offset:         48
        .size:           8
        .value_kind:     global_buffer
      - .offset:         56
        .size:           4
        .value_kind:     by_value
      - .actual_access:  read_only
        .address_space:  global
        .offset:         64
        .size:           8
        .value_kind:     global_buffer
      - .actual_access:  read_only
        .address_space:  global
        .offset:         72
        .size:           8
        .value_kind:     global_buffer
      - .address_space:  global
        .offset:         80
        .size:           8
        .value_kind:     global_buffer
    .group_segment_fixed_size: 0
    .kernarg_segment_align: 8
    .kernarg_segment_size: 88
    .language:       OpenCL C
    .language_version:
      - 2
      - 0
    .max_flat_workgroup_size: 63
    .name:           fft_rtc_back_len630_factors_3_3_5_7_2_wgs_63_tpt_63_halfLds_half_ip_CI_sbrr_dirReg
    .private_segment_fixed_size: 0
    .sgpr_count:     28
    .sgpr_spill_count: 0
    .symbol:         fft_rtc_back_len630_factors_3_3_5_7_2_wgs_63_tpt_63_halfLds_half_ip_CI_sbrr_dirReg.kd
    .uniform_work_group_size: 1
    .uses_dynamic_stack: false
    .vgpr_count:     65
    .vgpr_spill_count: 0
    .wavefront_size: 64
amdhsa.target:   amdgcn-amd-amdhsa--gfx906
amdhsa.version:
  - 1
  - 2
...

	.end_amdgpu_metadata
